;; amdgpu-corpus repo=LLNL/RAJAPerf kind=compiled arch=gfx1100 opt=O3
	.text
	.amdgcn_target "amdgcn-amd-amdhsa--gfx1100"
	.amdhsa_code_object_version 6
	.section	.text._ZN8rajaperf4apps8Mass3DPAILm25EEEvPdS2_S2_S2_S2_,"axG",@progbits,_ZN8rajaperf4apps8Mass3DPAILm25EEEvPdS2_S2_S2_S2_,comdat
	.protected	_ZN8rajaperf4apps8Mass3DPAILm25EEEvPdS2_S2_S2_S2_ ; -- Begin function _ZN8rajaperf4apps8Mass3DPAILm25EEEvPdS2_S2_S2_S2_
	.globl	_ZN8rajaperf4apps8Mass3DPAILm25EEEvPdS2_S2_S2_S2_
	.p2align	8
	.type	_ZN8rajaperf4apps8Mass3DPAILm25EEEvPdS2_S2_S2_S2_,@function
_ZN8rajaperf4apps8Mass3DPAILm25EEEvPdS2_S2_S2_S2_: ; @_ZN8rajaperf4apps8Mass3DPAILm25EEEvPdS2_S2_S2_S2_
; %bb.0:
	s_clause 0x1
	s_load_b256 s[4:11], s[0:1], 0x0
	s_load_b64 s[2:3], s[0:1], 0x20
	v_bfe_u32 v1, v0, 10, 10
	v_and_b32_e32 v0, 0x3ff, v0
	s_mov_b32 s12, s15
	s_mov_b32 s13, 0
	s_delay_alu instid0(VALU_DEP_2)
	v_cmp_gt_u32_e32 vcc_lo, 4, v1
	s_and_saveexec_b32 s1, vcc_lo
	s_cbranch_execz .LBB0_5
; %bb.1:
	v_lshlrev_b32_e32 v2, 3, v0
	s_mov_b32 s14, exec_lo
	v_cmpx_gt_u32_e32 4, v0
	s_cbranch_execz .LBB0_3
; %bb.2:
	s_lshl_b64 s[16:17], s[12:13], 6
	v_lshl_add_u32 v11, v1, 5, v2
	v_lshl_or_b32 v3, v1, 2, s16
	v_mov_b32_e32 v4, s17
	s_delay_alu instid0(VALU_DEP_2) | instskip(NEXT) | instid1(VALU_DEP_1)
	v_or_b32_e32 v3, v3, v0
	v_lshlrev_b64 v[3:4], 3, v[3:4]
	s_waitcnt lgkmcnt(0)
	s_delay_alu instid0(VALU_DEP_1) | instskip(NEXT) | instid1(VALU_DEP_1)
	v_add_co_u32 v3, s0, s10, v3
	v_add_co_ci_u32_e64 v4, s0, s11, v4, s0
	s_clause 0x3
	global_load_b64 v[5:6], v[3:4], off
	global_load_b64 v[7:8], v[3:4], off offset:128
	global_load_b64 v[9:10], v[3:4], off offset:256
	;; [unrolled: 1-line block ×3, first 2 shown]
	s_waitcnt vmcnt(2)
	ds_store_2addr_b64 v11, v[5:6], v[7:8] offset1:16
	s_waitcnt vmcnt(0)
	ds_store_2addr_b64 v11, v[9:10], v[3:4] offset0:32 offset1:48
.LBB0_3:
	s_or_b32 exec_lo, exec_lo, s14
	s_waitcnt lgkmcnt(0)
	s_mov_b32 s10, exec_lo
	v_cmpx_gt_u32_e32 5, v0
	s_xor_b32 s10, exec_lo, s10
	s_cbranch_execz .LBB0_5
; %bb.4:
	v_mad_u64_u32 v[3:4], null, v1, 40, s[4:5]
	s_delay_alu instid0(VALU_DEP_1) | instskip(NEXT) | instid1(VALU_DEP_1)
	v_add_co_u32 v2, s0, v3, v2
	v_add_co_ci_u32_e64 v3, s0, 0, v4, s0
	v_lshlrev_b32_e32 v4, 3, v1
	global_load_b64 v[2:3], v[2:3], off
	v_lshl_add_u32 v4, v0, 5, v4
	s_waitcnt vmcnt(0)
	ds_store_b64 v4, v[2:3] offset:2016
.LBB0_5:
	s_or_b32 exec_lo, exec_lo, s1
	s_waitcnt vmcnt(0) lgkmcnt(0)
	s_waitcnt_vscnt null, 0x0
	; wave barrier
	s_waitcnt lgkmcnt(0)
	buffer_gl0_inv
	s_and_saveexec_b32 s1, vcc_lo
	s_cbranch_execz .LBB0_8
; %bb.6:
	v_cmp_gt_u32_e64 s0, 5, v0
	s_delay_alu instid0(VALU_DEP_1)
	s_and_b32 exec_lo, exec_lo, s0
	s_cbranch_execz .LBB0_8
; %bb.7:
	v_lshlrev_b32_e32 v38, 5, v1
	v_lshlrev_b32_e32 v22, 5, v0
	ds_load_b128 v[2:5], v38
	ds_load_b128 v[6:9], v22 offset:2016
	ds_load_b128 v[10:13], v38 offset:128
	;; [unrolled: 1-line block ×9, first 2 shown]
	s_waitcnt lgkmcnt(8)
	v_fma_f64 v[2:3], v[2:3], v[6:7], 0
	s_waitcnt lgkmcnt(7)
	v_fma_f64 v[10:11], v[10:11], v[6:7], 0
	;; [unrolled: 2-line block ×4, first 2 shown]
	s_delay_alu instid0(VALU_DEP_4) | instskip(NEXT) | instid1(VALU_DEP_4)
	v_fma_f64 v[2:3], v[4:5], v[8:9], v[2:3]
	v_fma_f64 v[4:5], v[12:13], v[8:9], v[10:11]
	s_delay_alu instid0(VALU_DEP_4) | instskip(NEXT) | instid1(VALU_DEP_4)
	v_fma_f64 v[10:11], v[16:17], v[8:9], v[14:15]
	v_fma_f64 v[6:7], v[20:21], v[8:9], v[6:7]
	s_waitcnt lgkmcnt(3)
	s_delay_alu instid0(VALU_DEP_4) | instskip(SKIP_1) | instid1(VALU_DEP_4)
	v_fma_f64 v[2:3], v[26:27], v[22:23], v[2:3]
	s_waitcnt lgkmcnt(2)
	v_fma_f64 v[4:5], v[30:31], v[22:23], v[4:5]
	s_waitcnt lgkmcnt(1)
	s_delay_alu instid0(VALU_DEP_4) | instskip(SKIP_1) | instid1(VALU_DEP_4)
	v_fma_f64 v[8:9], v[34:35], v[22:23], v[10:11]
	s_waitcnt lgkmcnt(0)
	v_fma_f64 v[6:7], v[38:39], v[22:23], v[6:7]
	v_lshlrev_b32_e32 v10, 3, v0
	s_delay_alu instid0(VALU_DEP_1)
	v_mad_u32_u24 v10, v1, 40, v10
	v_fma_f64 v[2:3], v[28:29], v[24:25], v[2:3]
	v_fma_f64 v[4:5], v[32:33], v[24:25], v[4:5]
	;; [unrolled: 1-line block ×4, first 2 shown]
	ds_store_2addr_b64 v10, v[2:3], v[4:5] offset0:126 offset1:146
	ds_store_2addr_b64 v10, v[8:9], v[6:7] offset0:166 offset1:186
.LBB0_8:
	s_or_b32 exec_lo, exec_lo, s1
	v_cmp_gt_u32_e64 s0, 5, v1
	s_waitcnt vmcnt(0) lgkmcnt(0)
	s_waitcnt_vscnt null, 0x0
	; wave barrier
	s_waitcnt lgkmcnt(0)
	buffer_gl0_inv
	s_and_saveexec_b32 s4, s0
	s_cbranch_execz .LBB0_11
; %bb.9:
	v_cmp_gt_u32_e64 s1, 5, v0
	s_delay_alu instid0(VALU_DEP_1)
	s_and_b32 exec_lo, exec_lo, s1
	s_cbranch_execz .LBB0_11
; %bb.10:
	v_lshlrev_b32_e32 v30, 3, v0
	v_lshlrev_b32_e32 v22, 5, v1
	ds_load_2addr_b64 v[2:5], v30 offset0:126 offset1:131
	ds_load_b128 v[6:9], v22 offset:2016
	ds_load_2addr_b64 v[10:13], v30 offset0:146 offset1:151
	ds_load_2addr_b64 v[14:17], v30 offset0:166 offset1:171
	;; [unrolled: 1-line block ×3, first 2 shown]
	ds_load_b128 v[22:25], v22 offset:2032
	s_waitcnt lgkmcnt(4)
	v_fma_f64 v[2:3], v[2:3], v[6:7], 0
	s_waitcnt lgkmcnt(3)
	v_fma_f64 v[10:11], v[10:11], v[6:7], 0
	;; [unrolled: 2-line block ×4, first 2 shown]
	s_delay_alu instid0(VALU_DEP_4) | instskip(NEXT) | instid1(VALU_DEP_4)
	v_fma_f64 v[18:19], v[4:5], v[8:9], v[2:3]
	v_fma_f64 v[26:27], v[12:13], v[8:9], v[10:11]
	s_delay_alu instid0(VALU_DEP_4) | instskip(NEXT) | instid1(VALU_DEP_4)
	v_fma_f64 v[28:29], v[16:17], v[8:9], v[14:15]
	v_fma_f64 v[20:21], v[20:21], v[8:9], v[6:7]
	ds_load_2addr_b64 v[2:5], v30 offset0:136 offset1:141
	ds_load_2addr_b64 v[6:9], v30 offset0:156 offset1:161
	;; [unrolled: 1-line block ×4, first 2 shown]
	s_waitcnt lgkmcnt(3)
	v_fma_f64 v[2:3], v[2:3], v[22:23], v[18:19]
	s_waitcnt lgkmcnt(2)
	v_fma_f64 v[6:7], v[6:7], v[22:23], v[26:27]
	;; [unrolled: 2-line block ×4, first 2 shown]
	s_delay_alu instid0(VALU_DEP_4) | instskip(NEXT) | instid1(VALU_DEP_4)
	v_fma_f64 v[2:3], v[4:5], v[24:25], v[2:3]
	v_fma_f64 v[4:5], v[8:9], v[24:25], v[6:7]
	s_delay_alu instid0(VALU_DEP_4) | instskip(NEXT) | instid1(VALU_DEP_4)
	v_fma_f64 v[6:7], v[12:13], v[24:25], v[10:11]
	v_fma_f64 v[8:9], v[16:17], v[24:25], v[14:15]
	v_mad_u32_u24 v10, v1, 40, v30
	ds_store_2addr_b64 v10, v[2:3], v[4:5] offset1:25
	ds_store_2addr_b64 v10, v[6:7], v[8:9] offset0:50 offset1:75
.LBB0_11:
	s_or_b32 exec_lo, exec_lo, s4
	s_waitcnt vmcnt(0) lgkmcnt(0)
	s_waitcnt_vscnt null, 0x0
	; wave barrier
	s_waitcnt lgkmcnt(0)
	buffer_gl0_inv
	s_and_saveexec_b32 s10, s0
	s_cbranch_execz .LBB0_14
; %bb.12:
	v_cmp_gt_u32_e64 s1, 5, v0
	s_delay_alu instid0(VALU_DEP_1)
	s_and_b32 exec_lo, exec_lo, s1
	s_cbranch_execz .LBB0_14
; %bb.13:
	s_mul_i32 s1, s12, 0x3e8
	s_mul_hi_u32 s5, s12, 0x3e8
	s_add_u32 s4, s8, s1
	s_addc_u32 s5, s9, s5
	v_lshlrev_b32_e32 v4, 3, v0
	v_mad_u64_u32 v[2:3], null, v1, 40, s[4:5]
	v_mov_b32_e32 v42, 0
	s_delay_alu instid0(VALU_DEP_3) | instskip(NEXT) | instid1(VALU_DEP_3)
	v_mad_u32_u24 v56, v1, 40, v4
	v_add_co_u32 v2, s1, v2, v4
	s_delay_alu instid0(VALU_DEP_1)
	v_add_co_ci_u32_e64 v3, s1, 0, v3, s1
	s_clause 0x4
	global_load_b64 v[46:47], v[2:3], off
	global_load_b64 v[48:49], v[2:3], off offset:200
	global_load_b64 v[50:51], v[2:3], off offset:400
	;; [unrolled: 1-line block ×4, first 2 shown]
	ds_load_2addr_b64 v[2:5], v56 offset1:25
	ds_load_b128 v[6:9], v42 offset:2016
	ds_load_b128 v[10:13], v42 offset:2048
	;; [unrolled: 1-line block ×10, first 2 shown]
	s_waitcnt lgkmcnt(9)
	v_fma_f64 v[6:7], v[2:3], v[6:7], 0
	s_waitcnt lgkmcnt(8)
	v_fma_f64 v[10:11], v[2:3], v[10:11], 0
	;; [unrolled: 2-line block ×5, first 2 shown]
	v_fma_f64 v[6:7], v[4:5], v[8:9], v[6:7]
	v_fma_f64 v[8:9], v[4:5], v[12:13], v[10:11]
	;; [unrolled: 1-line block ×5, first 2 shown]
	ds_load_2addr_b64 v[2:5], v56 offset0:50 offset1:75
	s_waitcnt lgkmcnt(0)
	v_fma_f64 v[6:7], v[2:3], v[26:27], v[6:7]
	v_fma_f64 v[8:9], v[2:3], v[30:31], v[8:9]
	;; [unrolled: 1-line block ×10, first 2 shown]
	s_waitcnt vmcnt(4)
	v_mul_f64 v[4:5], v[6:7], v[46:47]
	s_waitcnt vmcnt(3)
	v_mul_f64 v[6:7], v[8:9], v[48:49]
	;; [unrolled: 2-line block ×5, first 2 shown]
	ds_store_2addr_b64 v56, v[4:5], v[6:7] offset0:126 offset1:151
	ds_store_2addr_b64 v56, v[8:9], v[10:11] offset0:176 offset1:201
	ds_store_b64 v56, v[2:3] offset:1808
.LBB0_14:
	s_or_b32 exec_lo, exec_lo, s10
	s_waitcnt vmcnt(0) lgkmcnt(0)
	s_waitcnt_vscnt null, 0x0
	; wave barrier
	s_waitcnt lgkmcnt(0)
	buffer_gl0_inv
	s_and_saveexec_b32 s4, vcc_lo
	s_cbranch_execz .LBB0_17
; %bb.15:
	v_cmp_gt_u32_e64 s1, 5, v0
	s_delay_alu instid0(VALU_DEP_1)
	s_and_b32 exec_lo, exec_lo, s1
	s_cbranch_execz .LBB0_17
; %bb.16:
	v_lshlrev_b32_e32 v2, 5, v1
	v_lshlrev_b32_e32 v4, 3, v0
	s_delay_alu instid0(VALU_DEP_2) | instskip(NEXT) | instid1(VALU_DEP_1)
	v_add_co_u32 v2, s1, s6, v2
	v_add_co_ci_u32_e64 v3, null, s7, 0, s1
	s_delay_alu instid0(VALU_DEP_2) | instskip(NEXT) | instid1(VALU_DEP_1)
	v_add_co_u32 v2, s1, v2, v4
	v_add_co_ci_u32_e64 v3, s1, 0, v3, s1
	v_mad_u32_u24 v4, v1, 40, v4
	global_load_b64 v[2:3], v[2:3], off
	s_waitcnt vmcnt(0)
	ds_store_b64 v4, v[2:3] offset:2016
.LBB0_17:
	s_or_b32 exec_lo, exec_lo, s4
	s_waitcnt vmcnt(0) lgkmcnt(0)
	s_waitcnt_vscnt null, 0x0
	; wave barrier
	s_waitcnt lgkmcnt(0)
	buffer_gl0_inv
	s_and_saveexec_b32 s1, s0
	s_cbranch_execz .LBB0_20
; %bb.18:
	v_cmp_gt_u32_e64 s0, 4, v0
	s_delay_alu instid0(VALU_DEP_1)
	s_and_b32 exec_lo, exec_lo, s0
	s_cbranch_execz .LBB0_20
; %bb.19:
	v_mul_u32_u24_e32 v48, 40, v1
	v_mul_u32_u24_e32 v46, 40, v0
	ds_load_2addr_b64 v[2:5], v48 offset0:126 offset1:127
	ds_load_2addr_b64 v[6:9], v46 offset0:252 offset1:253
	;; [unrolled: 1-line block ×11, first 2 shown]
	ds_load_b64 v[46:47], v46 offset:2048
	s_waitcnt lgkmcnt(10)
	v_fma_f64 v[2:3], v[2:3], v[6:7], 0
	s_waitcnt lgkmcnt(9)
	v_fma_f64 v[10:11], v[10:11], v[6:7], 0
	;; [unrolled: 2-line block ×5, first 2 shown]
	v_fma_f64 v[22:23], v[4:5], v[8:9], v[2:3]
	v_fma_f64 v[10:11], v[12:13], v[8:9], v[10:11]
	;; [unrolled: 1-line block ×5, first 2 shown]
	ds_load_2addr_b64 v[2:5], v48 offset0:228 offset1:229
	ds_load_b64 v[16:17], v48 offset:1840
	s_waitcnt lgkmcnt(6)
	v_fma_f64 v[8:9], v[30:31], v[26:27], v[22:23]
	s_waitcnt lgkmcnt(5)
	v_fma_f64 v[10:11], v[34:35], v[26:27], v[10:11]
	;; [unrolled: 2-line block ×5, first 2 shown]
	v_fma_f64 v[18:19], v[32:33], v[28:29], v[8:9]
	v_fma_f64 v[10:11], v[36:37], v[28:29], v[10:11]
	;; [unrolled: 1-line block ×5, first 2 shown]
	ds_load_2addr_b64 v[2:5], v48 offset0:130 offset1:155
	ds_load_2addr_b64 v[6:9], v48 offset0:180 offset1:205
	s_waitcnt lgkmcnt(1)
	v_fma_f64 v[2:3], v[2:3], v[46:47], v[18:19]
	v_fma_f64 v[4:5], v[4:5], v[46:47], v[10:11]
	s_waitcnt lgkmcnt(0)
	v_fma_f64 v[6:7], v[6:7], v[46:47], v[12:13]
	v_fma_f64 v[8:9], v[8:9], v[46:47], v[14:15]
	;; [unrolled: 1-line block ×3, first 2 shown]
	v_lshlrev_b32_e32 v12, 3, v0
	s_delay_alu instid0(VALU_DEP_1)
	v_lshl_add_u32 v12, v1, 5, v12
	ds_store_2addr_b64 v12, v[2:3], v[4:5] offset1:20
	ds_store_2addr_b64 v12, v[6:7], v[8:9] offset0:40 offset1:60
	ds_store_b64 v12, v[10:11] offset:640
.LBB0_20:
	s_or_b32 exec_lo, exec_lo, s1
	s_waitcnt vmcnt(0) lgkmcnt(0)
	s_waitcnt_vscnt null, 0x0
	; wave barrier
	s_waitcnt lgkmcnt(0)
	buffer_gl0_inv
	s_and_saveexec_b32 s1, vcc_lo
	s_cbranch_execz .LBB0_23
; %bb.21:
	v_cmp_gt_u32_e64 s0, 4, v0
	s_delay_alu instid0(VALU_DEP_1)
	s_and_b32 exec_lo, exec_lo, s0
	s_cbranch_execz .LBB0_23
; %bb.22:
	v_lshlrev_b32_e32 v38, 3, v0
	v_mul_u32_u24_e32 v39, 40, v1
	ds_load_2addr_b64 v[2:5], v38 offset1:4
	ds_load_2addr_b64 v[6:9], v39 offset0:252 offset1:253
	ds_load_2addr_b64 v[10:13], v38 offset0:16 offset1:20
	;; [unrolled: 1-line block ×6, first 2 shown]
	s_waitcnt lgkmcnt(5)
	v_fma_f64 v[2:3], v[2:3], v[6:7], 0
	s_waitcnt lgkmcnt(4)
	v_fma_f64 v[30:31], v[12:13], v[6:7], 0
	;; [unrolled: 2-line block ×5, first 2 shown]
	ds_load_2addr_b64 v[12:15], v38 offset0:24 offset1:28
	ds_load_2addr_b64 v[20:23], v38 offset0:64 offset1:68
	v_fma_f64 v[36:37], v[4:5], v[8:9], v[2:3]
	s_waitcnt lgkmcnt(1)
	v_fma_f64 v[12:13], v[12:13], v[8:9], v[30:31]
	v_fma_f64 v[16:17], v[16:17], v[8:9], v[32:33]
	s_waitcnt lgkmcnt(0)
	v_fma_f64 v[20:21], v[20:21], v[8:9], v[34:35]
	v_fma_f64 v[24:25], v[24:25], v[8:9], v[6:7]
	ds_load_2addr_b64 v[2:5], v38 offset0:8 offset1:12
	ds_load_2addr_b64 v[6:9], v38 offset0:48 offset1:52
	;; [unrolled: 1-line block ×3, first 2 shown]
	s_waitcnt lgkmcnt(2)
	v_fma_f64 v[2:3], v[2:3], v[26:27], v[36:37]
	v_fma_f64 v[34:35], v[14:15], v[26:27], v[12:13]
	s_waitcnt lgkmcnt(1)
	v_fma_f64 v[6:7], v[6:7], v[26:27], v[16:17]
	v_fma_f64 v[16:17], v[22:23], v[26:27], v[20:21]
	s_waitcnt lgkmcnt(0)
	v_fma_f64 v[24:25], v[30:31], v[26:27], v[24:25]
	ds_load_2addr_b64 v[12:15], v38 offset0:32 offset1:36
	ds_load_2addr_b64 v[20:23], v38 offset0:72 offset1:76
	v_fma_f64 v[2:3], v[4:5], v[28:29], v[2:3]
	s_waitcnt lgkmcnt(1)
	v_fma_f64 v[4:5], v[12:13], v[28:29], v[34:35]
	v_fma_f64 v[6:7], v[8:9], v[28:29], v[6:7]
	s_waitcnt lgkmcnt(0)
	v_fma_f64 v[8:9], v[20:21], v[28:29], v[16:17]
	v_fma_f64 v[12:13], v[32:33], v[28:29], v[24:25]
	ds_load_b64 v[16:17], v39 offset:2048
	ds_load_b64 v[20:21], v38 offset:768
	s_waitcnt lgkmcnt(1)
	v_fma_f64 v[2:3], v[10:11], v[16:17], v[2:3]
	v_fma_f64 v[4:5], v[14:15], v[16:17], v[4:5]
	;; [unrolled: 1-line block ×4, first 2 shown]
	s_waitcnt lgkmcnt(0)
	v_fma_f64 v[10:11], v[20:21], v[16:17], v[12:13]
	v_lshl_add_u32 v12, v1, 5, v38
	ds_store_2addr_b64 v12, v[2:3], v[4:5] offset0:126 offset1:142
	ds_store_2addr_b64 v12, v[6:7], v[8:9] offset0:158 offset1:174
	ds_store_b64 v12, v[10:11] offset:1520
.LBB0_23:
	s_or_b32 exec_lo, exec_lo, s1
	s_waitcnt vmcnt(0) lgkmcnt(0)
	s_waitcnt_vscnt null, 0x0
	; wave barrier
	s_waitcnt lgkmcnt(0)
	buffer_gl0_inv
	s_and_saveexec_b32 s0, vcc_lo
	s_cbranch_execz .LBB0_26
; %bb.24:
	v_cmp_gt_u32_e32 vcc_lo, 4, v0
	s_and_b32 exec_lo, exec_lo, vcc_lo
	s_cbranch_execz .LBB0_26
; %bb.25:
	s_lshl_b64 s[0:1], s[12:13], 6
	s_delay_alu instid0(SALU_CYCLE_1) | instskip(SKIP_1) | instid1(VALU_DEP_2)
	v_dual_mov_b32 v3, s1 :: v_dual_lshlrev_b32 v2, 2, v1
	v_mov_b32_e32 v48, 0
	v_or3_b32 v2, s0, v2, v0
	v_lshlrev_b32_e32 v0, 3, v0
	s_delay_alu instid0(VALU_DEP_2) | instskip(NEXT) | instid1(VALU_DEP_2)
	v_lshlrev_b64 v[2:3], 3, v[2:3]
	v_lshl_add_u32 v49, v1, 5, v0
	s_delay_alu instid0(VALU_DEP_2) | instskip(NEXT) | instid1(VALU_DEP_3)
	v_add_co_u32 v32, vcc_lo, s2, v2
	v_add_co_ci_u32_e32 v33, vcc_lo, s3, v3, vcc_lo
	s_clause 0x3
	global_load_b64 v[34:35], v[32:33], off
	global_load_b64 v[36:37], v[32:33], off offset:128
	global_load_b64 v[38:39], v[32:33], off offset:256
	;; [unrolled: 1-line block ×3, first 2 shown]
	ds_load_b128 v[0:3], v48 offset:2016
	ds_load_2addr_b64 v[4:7], v49 offset0:126 offset1:142
	ds_load_b128 v[8:11], v48 offset:2048
	ds_load_b128 v[12:15], v48 offset:2096
	;; [unrolled: 1-line block ×5, first 2 shown]
	ds_load_b64 v[42:43], v49 offset:1520
	s_waitcnt lgkmcnt(6)
	v_fma_f64 v[0:1], v[4:5], v[0:1], 0
	s_waitcnt lgkmcnt(5)
	v_fma_f64 v[44:45], v[4:5], v[10:11], 0
	;; [unrolled: 2-line block ×4, first 2 shown]
	ds_load_b128 v[10:13], v48 offset:2064
	ds_load_b128 v[28:31], v48 offset:2080
	v_fma_f64 v[18:19], v[6:7], v[2:3], v[0:1]
	s_waitcnt lgkmcnt(1)
	v_fma_f64 v[10:11], v[6:7], v[10:11], v[44:45]
	v_fma_f64 v[14:15], v[6:7], v[14:15], v[46:47]
	v_fma_f64 v[20:21], v[6:7], v[20:21], v[4:5]
	ds_load_b128 v[0:3], v48 offset:2032
	ds_load_2addr_b64 v[4:7], v49 offset0:158 offset1:174
	s_waitcnt lgkmcnt(0)
	v_fma_f64 v[0:1], v[4:5], v[0:1], v[18:19]
	v_fma_f64 v[18:19], v[4:5], v[12:13], v[10:11]
	;; [unrolled: 1-line block ×4, first 2 shown]
	ds_load_b128 v[10:13], v48 offset:2160
	v_fma_f64 v[0:1], v[6:7], v[2:3], v[0:1]
	v_fma_f64 v[2:3], v[6:7], v[28:29], v[18:19]
	v_fma_f64 v[14:15], v[6:7], v[26:27], v[14:15]
	s_waitcnt lgkmcnt(0)
	v_fma_f64 v[4:5], v[6:7], v[10:11], v[4:5]
	s_delay_alu instid0(VALU_DEP_4) | instskip(NEXT) | instid1(VALU_DEP_4)
	v_fma_f64 v[0:1], v[42:43], v[8:9], v[0:1]
	v_fma_f64 v[2:3], v[42:43], v[30:31], v[2:3]
	s_delay_alu instid0(VALU_DEP_4) | instskip(NEXT) | instid1(VALU_DEP_4)
	v_fma_f64 v[6:7], v[42:43], v[16:17], v[14:15]
	v_fma_f64 v[4:5], v[42:43], v[12:13], v[4:5]
	s_waitcnt vmcnt(3)
	s_delay_alu instid0(VALU_DEP_4) | instskip(SKIP_1) | instid1(VALU_DEP_4)
	v_add_f64 v[0:1], v[0:1], v[34:35]
	s_waitcnt vmcnt(2)
	v_add_f64 v[2:3], v[2:3], v[36:37]
	s_waitcnt vmcnt(1)
	s_delay_alu instid0(VALU_DEP_4) | instskip(SKIP_1) | instid1(VALU_DEP_4)
	v_add_f64 v[6:7], v[6:7], v[38:39]
	s_waitcnt vmcnt(0)
	v_add_f64 v[4:5], v[4:5], v[40:41]
	s_clause 0x3
	global_store_b64 v[32:33], v[0:1], off
	global_store_b64 v[32:33], v[2:3], off offset:128
	global_store_b64 v[32:33], v[6:7], off offset:256
	;; [unrolled: 1-line block ×3, first 2 shown]
.LBB0_26:
	s_nop 0
	s_sendmsg sendmsg(MSG_DEALLOC_VGPRS)
	s_endpgm
	.section	.rodata,"a",@progbits
	.p2align	6, 0x0
	.amdhsa_kernel _ZN8rajaperf4apps8Mass3DPAILm25EEEvPdS2_S2_S2_S2_
		.amdhsa_group_segment_fixed_size 2176
		.amdhsa_private_segment_fixed_size 0
		.amdhsa_kernarg_size 40
		.amdhsa_user_sgpr_count 15
		.amdhsa_user_sgpr_dispatch_ptr 0
		.amdhsa_user_sgpr_queue_ptr 0
		.amdhsa_user_sgpr_kernarg_segment_ptr 1
		.amdhsa_user_sgpr_dispatch_id 0
		.amdhsa_user_sgpr_private_segment_size 0
		.amdhsa_wavefront_size32 1
		.amdhsa_uses_dynamic_stack 0
		.amdhsa_enable_private_segment 0
		.amdhsa_system_sgpr_workgroup_id_x 1
		.amdhsa_system_sgpr_workgroup_id_y 0
		.amdhsa_system_sgpr_workgroup_id_z 0
		.amdhsa_system_sgpr_workgroup_info 0
		.amdhsa_system_vgpr_workitem_id 1
		.amdhsa_next_free_vgpr 57
		.amdhsa_next_free_sgpr 18
		.amdhsa_reserve_vcc 1
		.amdhsa_float_round_mode_32 0
		.amdhsa_float_round_mode_16_64 0
		.amdhsa_float_denorm_mode_32 3
		.amdhsa_float_denorm_mode_16_64 3
		.amdhsa_dx10_clamp 1
		.amdhsa_ieee_mode 1
		.amdhsa_fp16_overflow 0
		.amdhsa_workgroup_processor_mode 1
		.amdhsa_memory_ordered 1
		.amdhsa_forward_progress 0
		.amdhsa_shared_vgpr_count 0
		.amdhsa_exception_fp_ieee_invalid_op 0
		.amdhsa_exception_fp_denorm_src 0
		.amdhsa_exception_fp_ieee_div_zero 0
		.amdhsa_exception_fp_ieee_overflow 0
		.amdhsa_exception_fp_ieee_underflow 0
		.amdhsa_exception_fp_ieee_inexact 0
		.amdhsa_exception_int_div_zero 0
	.end_amdhsa_kernel
	.section	.text._ZN8rajaperf4apps8Mass3DPAILm25EEEvPdS2_S2_S2_S2_,"axG",@progbits,_ZN8rajaperf4apps8Mass3DPAILm25EEEvPdS2_S2_S2_S2_,comdat
.Lfunc_end0:
	.size	_ZN8rajaperf4apps8Mass3DPAILm25EEEvPdS2_S2_S2_S2_, .Lfunc_end0-_ZN8rajaperf4apps8Mass3DPAILm25EEEvPdS2_S2_S2_S2_
                                        ; -- End function
	.section	.AMDGPU.csdata,"",@progbits
; Kernel info:
; codeLenInByte = 3144
; NumSgprs: 20
; NumVgprs: 57
; ScratchSize: 0
; MemoryBound: 0
; FloatMode: 240
; IeeeMode: 1
; LDSByteSize: 2176 bytes/workgroup (compile time only)
; SGPRBlocks: 2
; VGPRBlocks: 7
; NumSGPRsForWavesPerEU: 20
; NumVGPRsForWavesPerEU: 57
; Occupancy: 15
; WaveLimiterHint : 1
; COMPUTE_PGM_RSRC2:SCRATCH_EN: 0
; COMPUTE_PGM_RSRC2:USER_SGPR: 15
; COMPUTE_PGM_RSRC2:TRAP_HANDLER: 0
; COMPUTE_PGM_RSRC2:TGID_X_EN: 1
; COMPUTE_PGM_RSRC2:TGID_Y_EN: 0
; COMPUTE_PGM_RSRC2:TGID_Z_EN: 0
; COMPUTE_PGM_RSRC2:TIDIG_COMP_CNT: 1
	.section	.text._ZN4RAJA34launch_new_reduce_global_fcn_fixedIZN8rajaperf4apps8MASS3DPA17runHipVariantImplILm25EEEvNS1_9VariantIDEEUlNS_14LaunchContextTINS_3hip33LaunchContextIndicesAndDimsPolicyINS7_14IndicesAndDimsILb0ELb0ELb0ELb0EEEEEEEE_Li25ENS_4expt15ForallParamPackIJEEEEEvT_T1_,"axG",@progbits,_ZN4RAJA34launch_new_reduce_global_fcn_fixedIZN8rajaperf4apps8MASS3DPA17runHipVariantImplILm25EEEvNS1_9VariantIDEEUlNS_14LaunchContextTINS_3hip33LaunchContextIndicesAndDimsPolicyINS7_14IndicesAndDimsILb0ELb0ELb0ELb0EEEEEEEE_Li25ENS_4expt15ForallParamPackIJEEEEEvT_T1_,comdat
	.protected	_ZN4RAJA34launch_new_reduce_global_fcn_fixedIZN8rajaperf4apps8MASS3DPA17runHipVariantImplILm25EEEvNS1_9VariantIDEEUlNS_14LaunchContextTINS_3hip33LaunchContextIndicesAndDimsPolicyINS7_14IndicesAndDimsILb0ELb0ELb0ELb0EEEEEEEE_Li25ENS_4expt15ForallParamPackIJEEEEEvT_T1_ ; -- Begin function _ZN4RAJA34launch_new_reduce_global_fcn_fixedIZN8rajaperf4apps8MASS3DPA17runHipVariantImplILm25EEEvNS1_9VariantIDEEUlNS_14LaunchContextTINS_3hip33LaunchContextIndicesAndDimsPolicyINS7_14IndicesAndDimsILb0ELb0ELb0ELb0EEEEEEEE_Li25ENS_4expt15ForallParamPackIJEEEEEvT_T1_
	.globl	_ZN4RAJA34launch_new_reduce_global_fcn_fixedIZN8rajaperf4apps8MASS3DPA17runHipVariantImplILm25EEEvNS1_9VariantIDEEUlNS_14LaunchContextTINS_3hip33LaunchContextIndicesAndDimsPolicyINS7_14IndicesAndDimsILb0ELb0ELb0ELb0EEEEEEEE_Li25ENS_4expt15ForallParamPackIJEEEEEvT_T1_
	.p2align	8
	.type	_ZN4RAJA34launch_new_reduce_global_fcn_fixedIZN8rajaperf4apps8MASS3DPA17runHipVariantImplILm25EEEvNS1_9VariantIDEEUlNS_14LaunchContextTINS_3hip33LaunchContextIndicesAndDimsPolicyINS7_14IndicesAndDimsILb0ELb0ELb0ELb0EEEEEEEE_Li25ENS_4expt15ForallParamPackIJEEEEEvT_T1_,@function
_ZN4RAJA34launch_new_reduce_global_fcn_fixedIZN8rajaperf4apps8MASS3DPA17runHipVariantImplILm25EEEvNS1_9VariantIDEEUlNS_14LaunchContextTINS_3hip33LaunchContextIndicesAndDimsPolicyINS7_14IndicesAndDimsILb0ELb0ELb0ELb0EEEEEEEE_Li25ENS_4expt15ForallParamPackIJEEEEEvT_T1_: ; @_ZN4RAJA34launch_new_reduce_global_fcn_fixedIZN8rajaperf4apps8MASS3DPA17runHipVariantImplILm25EEEvNS1_9VariantIDEEUlNS_14LaunchContextTINS_3hip33LaunchContextIndicesAndDimsPolicyINS7_14IndicesAndDimsILb0ELb0ELb0ELb0EEEEEEEE_Li25ENS_4expt15ForallParamPackIJEEEEEvT_T1_
; %bb.0:
	s_load_b256 s[4:11], s[0:1], 0x0
	s_mov_b32 s2, s15
	s_mov_b32 s3, 0
	s_waitcnt lgkmcnt(0)
	v_cmp_le_i64_e64 s4, s[4:5], s[2:3]
	s_delay_alu instid0(VALU_DEP_1)
	s_and_b32 vcc_lo, exec_lo, s4
	s_cbranch_vccnz .LBB1_27
; %bb.1:
	s_load_b128 s[12:15], s[0:1], 0x20
	v_bfe_u32 v1, v0, 10, 10
	v_and_b32_e32 v0, 0x3ff, v0
	s_delay_alu instid0(VALU_DEP_2)
	v_cmp_gt_u32_e32 vcc_lo, 4, v1
	s_and_saveexec_b32 s1, vcc_lo
	s_cbranch_execz .LBB1_6
; %bb.2:
	s_delay_alu instid0(VALU_DEP_2)
	v_lshlrev_b32_e32 v2, 3, v0
	s_mov_b32 s4, exec_lo
	v_cmpx_gt_u32_e32 4, v0
	s_cbranch_execz .LBB1_4
; %bb.3:
	v_lshlrev_b32_e32 v11, 5, v1
	s_lshl_b64 s[16:17], s[2:3], 9
	s_delay_alu instid0(SALU_CYCLE_1) | instskip(SKIP_1) | instid1(VALU_DEP_1)
	s_add_u32 s0, s16, s6
	s_addc_u32 s5, s17, s7
	v_add_co_u32 v3, s0, s0, v11
	s_delay_alu instid0(VALU_DEP_1) | instskip(SKIP_1) | instid1(VALU_DEP_3)
	v_add_co_ci_u32_e64 v4, null, s5, 0, s0
	v_add_nc_u32_e32 v11, v11, v2
	v_add_co_u32 v3, s0, v3, v2
	s_delay_alu instid0(VALU_DEP_1)
	v_add_co_ci_u32_e64 v4, s0, 0, v4, s0
	s_clause 0x3
	global_load_b64 v[5:6], v[3:4], off
	global_load_b64 v[7:8], v[3:4], off offset:128
	global_load_b64 v[9:10], v[3:4], off offset:256
	;; [unrolled: 1-line block ×3, first 2 shown]
	s_waitcnt vmcnt(2)
	ds_store_2addr_b64 v11, v[5:6], v[7:8] offset1:16
	s_waitcnt vmcnt(0)
	ds_store_2addr_b64 v11, v[9:10], v[3:4] offset0:32 offset1:48
.LBB1_4:
	s_or_b32 exec_lo, exec_lo, s4
	v_cmp_gt_u32_e64 s0, 5, v0
	s_delay_alu instid0(VALU_DEP_1)
	s_and_b32 exec_lo, exec_lo, s0
	s_cbranch_execz .LBB1_6
; %bb.5:
	v_mad_u64_u32 v[3:4], null, v1, 40, s[8:9]
	s_delay_alu instid0(VALU_DEP_1) | instskip(NEXT) | instid1(VALU_DEP_1)
	v_add_co_u32 v2, s0, v3, v2
	v_add_co_ci_u32_e64 v3, s0, 0, v4, s0
	v_lshlrev_b32_e32 v4, 3, v1
	global_load_b64 v[2:3], v[2:3], off
	v_lshl_add_u32 v4, v0, 5, v4
	s_waitcnt vmcnt(0)
	ds_store_b64 v4, v[2:3] offset:2016
.LBB1_6:
	s_or_b32 exec_lo, exec_lo, s1
	s_waitcnt vmcnt(0) lgkmcnt(0)
	s_waitcnt_vscnt null, 0x0
	; wave barrier
	s_waitcnt lgkmcnt(0)
	buffer_gl0_inv
	s_and_saveexec_b32 s1, vcc_lo
	s_cbranch_execz .LBB1_9
; %bb.7:
	v_cmp_gt_u32_e64 s0, 5, v0
	s_delay_alu instid0(VALU_DEP_1)
	s_and_b32 exec_lo, exec_lo, s0
	s_cbranch_execz .LBB1_9
; %bb.8:
	v_lshlrev_b32_e32 v38, 5, v1
	v_lshlrev_b32_e32 v22, 5, v0
	ds_load_b128 v[2:5], v38
	ds_load_b128 v[6:9], v22 offset:2016
	ds_load_b128 v[10:13], v38 offset:128
	;; [unrolled: 1-line block ×9, first 2 shown]
	s_waitcnt lgkmcnt(8)
	v_fma_f64 v[2:3], v[6:7], v[2:3], 0
	s_waitcnt lgkmcnt(7)
	v_fma_f64 v[10:11], v[6:7], v[10:11], 0
	;; [unrolled: 2-line block ×4, first 2 shown]
	s_delay_alu instid0(VALU_DEP_4) | instskip(NEXT) | instid1(VALU_DEP_4)
	v_fma_f64 v[2:3], v[8:9], v[4:5], v[2:3]
	v_fma_f64 v[4:5], v[8:9], v[12:13], v[10:11]
	s_delay_alu instid0(VALU_DEP_4) | instskip(NEXT) | instid1(VALU_DEP_4)
	v_fma_f64 v[10:11], v[8:9], v[16:17], v[14:15]
	v_fma_f64 v[6:7], v[8:9], v[20:21], v[6:7]
	s_waitcnt lgkmcnt(3)
	s_delay_alu instid0(VALU_DEP_4) | instskip(SKIP_1) | instid1(VALU_DEP_4)
	v_fma_f64 v[2:3], v[22:23], v[26:27], v[2:3]
	s_waitcnt lgkmcnt(2)
	v_fma_f64 v[4:5], v[22:23], v[30:31], v[4:5]
	s_waitcnt lgkmcnt(1)
	s_delay_alu instid0(VALU_DEP_4) | instskip(SKIP_1) | instid1(VALU_DEP_4)
	v_fma_f64 v[8:9], v[22:23], v[34:35], v[10:11]
	s_waitcnt lgkmcnt(0)
	v_fma_f64 v[6:7], v[22:23], v[38:39], v[6:7]
	v_lshlrev_b32_e32 v10, 3, v0
	s_delay_alu instid0(VALU_DEP_1)
	v_mad_u32_u24 v10, v1, 40, v10
	v_fma_f64 v[2:3], v[24:25], v[28:29], v[2:3]
	v_fma_f64 v[4:5], v[24:25], v[32:33], v[4:5]
	;; [unrolled: 1-line block ×4, first 2 shown]
	ds_store_2addr_b64 v10, v[2:3], v[4:5] offset0:126 offset1:146
	ds_store_2addr_b64 v10, v[8:9], v[6:7] offset0:166 offset1:186
.LBB1_9:
	s_or_b32 exec_lo, exec_lo, s1
	v_cmp_gt_u32_e64 s0, 5, v1
	s_waitcnt vmcnt(0) lgkmcnt(0)
	s_waitcnt_vscnt null, 0x0
	; wave barrier
	s_waitcnt lgkmcnt(0)
	buffer_gl0_inv
	s_and_saveexec_b32 s4, s0
	s_cbranch_execz .LBB1_12
; %bb.10:
	v_cmp_gt_u32_e64 s1, 5, v0
	s_delay_alu instid0(VALU_DEP_1)
	s_and_b32 exec_lo, exec_lo, s1
	s_cbranch_execz .LBB1_12
; %bb.11:
	v_lshlrev_b32_e32 v30, 3, v0
	v_lshlrev_b32_e32 v22, 5, v1
	ds_load_2addr_b64 v[2:5], v30 offset0:126 offset1:131
	ds_load_b128 v[6:9], v22 offset:2016
	ds_load_2addr_b64 v[10:13], v30 offset0:146 offset1:151
	ds_load_2addr_b64 v[14:17], v30 offset0:166 offset1:171
	;; [unrolled: 1-line block ×3, first 2 shown]
	ds_load_b128 v[22:25], v22 offset:2032
	s_waitcnt lgkmcnt(4)
	v_fma_f64 v[2:3], v[6:7], v[2:3], 0
	s_waitcnt lgkmcnt(3)
	v_fma_f64 v[10:11], v[6:7], v[10:11], 0
	;; [unrolled: 2-line block ×4, first 2 shown]
	s_delay_alu instid0(VALU_DEP_4) | instskip(NEXT) | instid1(VALU_DEP_4)
	v_fma_f64 v[18:19], v[8:9], v[4:5], v[2:3]
	v_fma_f64 v[26:27], v[8:9], v[12:13], v[10:11]
	s_delay_alu instid0(VALU_DEP_4) | instskip(NEXT) | instid1(VALU_DEP_4)
	v_fma_f64 v[28:29], v[8:9], v[16:17], v[14:15]
	v_fma_f64 v[20:21], v[8:9], v[20:21], v[6:7]
	ds_load_2addr_b64 v[2:5], v30 offset0:136 offset1:141
	ds_load_2addr_b64 v[6:9], v30 offset0:156 offset1:161
	;; [unrolled: 1-line block ×4, first 2 shown]
	s_waitcnt lgkmcnt(3)
	v_fma_f64 v[2:3], v[22:23], v[2:3], v[18:19]
	s_waitcnt lgkmcnt(2)
	v_fma_f64 v[6:7], v[22:23], v[6:7], v[26:27]
	;; [unrolled: 2-line block ×4, first 2 shown]
	s_delay_alu instid0(VALU_DEP_4) | instskip(NEXT) | instid1(VALU_DEP_4)
	v_fma_f64 v[2:3], v[24:25], v[4:5], v[2:3]
	v_fma_f64 v[4:5], v[24:25], v[8:9], v[6:7]
	s_delay_alu instid0(VALU_DEP_4) | instskip(NEXT) | instid1(VALU_DEP_4)
	v_fma_f64 v[6:7], v[24:25], v[12:13], v[10:11]
	v_fma_f64 v[8:9], v[24:25], v[16:17], v[14:15]
	v_mad_u32_u24 v10, v1, 40, v30
	ds_store_2addr_b64 v10, v[2:3], v[4:5] offset1:25
	ds_store_2addr_b64 v10, v[6:7], v[8:9] offset0:50 offset1:75
.LBB1_12:
	s_or_b32 exec_lo, exec_lo, s4
	s_waitcnt vmcnt(0) lgkmcnt(0)
	s_waitcnt_vscnt null, 0x0
	; wave barrier
	s_waitcnt lgkmcnt(0)
	buffer_gl0_inv
	s_and_saveexec_b32 s4, s0
	s_cbranch_execz .LBB1_15
; %bb.13:
	v_cmp_gt_u32_e64 s1, 5, v0
	s_delay_alu instid0(VALU_DEP_1)
	s_and_b32 exec_lo, exec_lo, s1
	s_cbranch_execz .LBB1_15
; %bb.14:
	v_mad_u64_u32 v[2:3], null, v1, 40, s[10:11]
	v_lshlrev_b32_e32 v6, 3, v0
	v_mov_b32_e32 v42, 0
	s_delay_alu instid0(VALU_DEP_2) | instskip(NEXT) | instid1(VALU_DEP_4)
	v_mad_u32_u24 v56, v1, 40, v6
	v_mad_u64_u32 v[4:5], null, 0x3e8, s2, v[2:3]
	s_delay_alu instid0(VALU_DEP_1) | instskip(NEXT) | instid1(VALU_DEP_1)
	v_add_co_u32 v2, s1, v4, v6
	v_add_co_ci_u32_e64 v3, s1, 0, v5, s1
	s_clause 0x4
	global_load_b64 v[46:47], v[2:3], off
	global_load_b64 v[48:49], v[2:3], off offset:200
	global_load_b64 v[50:51], v[2:3], off offset:400
	global_load_b64 v[52:53], v[2:3], off offset:600
	global_load_b64 v[54:55], v[2:3], off offset:800
	ds_load_2addr_b64 v[2:5], v56 offset1:25
	ds_load_b128 v[6:9], v42 offset:2016
	ds_load_b128 v[10:13], v42 offset:2048
	;; [unrolled: 1-line block ×10, first 2 shown]
	s_waitcnt lgkmcnt(9)
	v_fma_f64 v[6:7], v[2:3], v[6:7], 0
	s_waitcnt lgkmcnt(8)
	v_fma_f64 v[10:11], v[2:3], v[10:11], 0
	;; [unrolled: 2-line block ×5, first 2 shown]
	v_fma_f64 v[6:7], v[4:5], v[8:9], v[6:7]
	v_fma_f64 v[8:9], v[4:5], v[12:13], v[10:11]
	v_fma_f64 v[10:11], v[4:5], v[16:17], v[14:15]
	v_fma_f64 v[12:13], v[4:5], v[20:21], v[18:19]
	v_fma_f64 v[14:15], v[4:5], v[24:25], v[2:3]
	ds_load_2addr_b64 v[2:5], v56 offset0:50 offset1:75
	s_waitcnt lgkmcnt(0)
	v_fma_f64 v[6:7], v[2:3], v[26:27], v[6:7]
	v_fma_f64 v[8:9], v[2:3], v[30:31], v[8:9]
	;; [unrolled: 1-line block ×10, first 2 shown]
	s_waitcnt vmcnt(4)
	v_mul_f64 v[4:5], v[6:7], v[46:47]
	s_waitcnt vmcnt(3)
	v_mul_f64 v[6:7], v[8:9], v[48:49]
	;; [unrolled: 2-line block ×5, first 2 shown]
	ds_store_2addr_b64 v56, v[4:5], v[6:7] offset0:126 offset1:151
	ds_store_2addr_b64 v56, v[8:9], v[10:11] offset0:176 offset1:201
	ds_store_b64 v56, v[2:3] offset:1808
.LBB1_15:
	s_or_b32 exec_lo, exec_lo, s4
	s_waitcnt vmcnt(0) lgkmcnt(0)
	s_waitcnt_vscnt null, 0x0
	; wave barrier
	s_waitcnt lgkmcnt(0)
	buffer_gl0_inv
	s_and_saveexec_b32 s4, vcc_lo
	s_cbranch_execz .LBB1_18
; %bb.16:
	v_cmp_gt_u32_e64 s1, 5, v0
	s_delay_alu instid0(VALU_DEP_1)
	s_and_b32 exec_lo, exec_lo, s1
	s_cbranch_execz .LBB1_18
; %bb.17:
	v_lshlrev_b32_e32 v2, 5, v1
	v_lshlrev_b32_e32 v4, 3, v0
	s_delay_alu instid0(VALU_DEP_2) | instskip(NEXT) | instid1(VALU_DEP_1)
	v_add_co_u32 v2, s1, s12, v2
	v_add_co_ci_u32_e64 v3, null, s13, 0, s1
	s_delay_alu instid0(VALU_DEP_2) | instskip(NEXT) | instid1(VALU_DEP_1)
	v_add_co_u32 v2, s1, v2, v4
	v_add_co_ci_u32_e64 v3, s1, 0, v3, s1
	v_mad_u32_u24 v4, v1, 40, v4
	global_load_b64 v[2:3], v[2:3], off
	s_waitcnt vmcnt(0)
	ds_store_b64 v4, v[2:3] offset:2016
.LBB1_18:
	s_or_b32 exec_lo, exec_lo, s4
	s_waitcnt vmcnt(0) lgkmcnt(0)
	s_waitcnt_vscnt null, 0x0
	; wave barrier
	s_waitcnt lgkmcnt(0)
	buffer_gl0_inv
	s_and_saveexec_b32 s1, s0
	s_cbranch_execz .LBB1_21
; %bb.19:
	v_cmp_gt_u32_e64 s0, 4, v0
	s_delay_alu instid0(VALU_DEP_1)
	s_and_b32 exec_lo, exec_lo, s0
	s_cbranch_execz .LBB1_21
; %bb.20:
	v_mul_u32_u24_e32 v48, 40, v0
	v_mul_u32_u24_e32 v49, 40, v1
	ds_load_2addr_b64 v[2:5], v48 offset0:252 offset1:253
	ds_load_2addr_b64 v[6:9], v49 offset0:126 offset1:127
	;; [unrolled: 1-line block ×11, first 2 shown]
	ds_load_b64 v[46:47], v49 offset:1840
	s_waitcnt lgkmcnt(10)
	v_fma_f64 v[6:7], v[2:3], v[6:7], 0
	s_waitcnt lgkmcnt(9)
	v_fma_f64 v[10:11], v[2:3], v[10:11], 0
	;; [unrolled: 2-line block ×5, first 2 shown]
	v_fma_f64 v[6:7], v[4:5], v[8:9], v[6:7]
	v_fma_f64 v[8:9], v[4:5], v[12:13], v[10:11]
	;; [unrolled: 1-line block ×5, first 2 shown]
	ds_load_2addr_b64 v[2:5], v48 offset0:254 offset1:255
	ds_load_b64 v[16:17], v48 offset:2048
	s_waitcnt lgkmcnt(1)
	v_fma_f64 v[6:7], v[2:3], v[26:27], v[6:7]
	v_fma_f64 v[8:9], v[2:3], v[30:31], v[8:9]
	;; [unrolled: 1-line block ×10, first 2 shown]
	ds_load_2addr_b64 v[2:5], v49 offset0:130 offset1:155
	ds_load_2addr_b64 v[6:9], v49 offset0:180 offset1:205
	s_waitcnt lgkmcnt(1)
	v_fma_f64 v[2:3], v[16:17], v[2:3], v[14:15]
	v_fma_f64 v[4:5], v[16:17], v[4:5], v[18:19]
	s_waitcnt lgkmcnt(0)
	v_fma_f64 v[6:7], v[16:17], v[6:7], v[10:11]
	v_fma_f64 v[8:9], v[16:17], v[8:9], v[12:13]
	;; [unrolled: 1-line block ×3, first 2 shown]
	v_lshlrev_b32_e32 v12, 3, v0
	s_delay_alu instid0(VALU_DEP_1)
	v_lshl_add_u32 v12, v1, 5, v12
	ds_store_2addr_b64 v12, v[2:3], v[4:5] offset1:20
	ds_store_2addr_b64 v12, v[6:7], v[8:9] offset0:40 offset1:60
	ds_store_b64 v12, v[10:11] offset:640
.LBB1_21:
	s_or_b32 exec_lo, exec_lo, s1
	s_waitcnt vmcnt(0) lgkmcnt(0)
	s_waitcnt_vscnt null, 0x0
	; wave barrier
	s_waitcnt lgkmcnt(0)
	buffer_gl0_inv
	s_and_saveexec_b32 s1, vcc_lo
	s_cbranch_execz .LBB1_24
; %bb.22:
	v_cmp_gt_u32_e64 s0, 4, v0
	s_delay_alu instid0(VALU_DEP_1)
	s_and_b32 exec_lo, exec_lo, s0
	s_cbranch_execz .LBB1_24
; %bb.23:
	v_lshlrev_b32_e32 v38, 3, v0
	v_mul_u32_u24_e32 v39, 40, v1
	ds_load_2addr_b64 v[2:5], v38 offset1:4
	ds_load_2addr_b64 v[6:9], v39 offset0:252 offset1:253
	ds_load_2addr_b64 v[10:13], v38 offset0:16 offset1:20
	;; [unrolled: 1-line block ×6, first 2 shown]
	s_waitcnt lgkmcnt(5)
	v_fma_f64 v[2:3], v[6:7], v[2:3], 0
	s_waitcnt lgkmcnt(4)
	v_fma_f64 v[30:31], v[6:7], v[12:13], 0
	;; [unrolled: 2-line block ×5, first 2 shown]
	ds_load_2addr_b64 v[12:15], v38 offset0:24 offset1:28
	ds_load_2addr_b64 v[20:23], v38 offset0:64 offset1:68
	v_fma_f64 v[36:37], v[8:9], v[4:5], v[2:3]
	s_waitcnt lgkmcnt(1)
	v_fma_f64 v[12:13], v[8:9], v[12:13], v[30:31]
	v_fma_f64 v[16:17], v[8:9], v[16:17], v[32:33]
	s_waitcnt lgkmcnt(0)
	v_fma_f64 v[20:21], v[8:9], v[20:21], v[34:35]
	v_fma_f64 v[24:25], v[8:9], v[24:25], v[6:7]
	ds_load_2addr_b64 v[2:5], v38 offset0:8 offset1:12
	ds_load_2addr_b64 v[6:9], v38 offset0:48 offset1:52
	;; [unrolled: 1-line block ×3, first 2 shown]
	s_waitcnt lgkmcnt(2)
	v_fma_f64 v[2:3], v[26:27], v[2:3], v[36:37]
	v_fma_f64 v[34:35], v[26:27], v[14:15], v[12:13]
	s_waitcnt lgkmcnt(1)
	v_fma_f64 v[6:7], v[26:27], v[6:7], v[16:17]
	v_fma_f64 v[16:17], v[26:27], v[22:23], v[20:21]
	s_waitcnt lgkmcnt(0)
	v_fma_f64 v[24:25], v[26:27], v[30:31], v[24:25]
	ds_load_2addr_b64 v[12:15], v38 offset0:32 offset1:36
	ds_load_2addr_b64 v[20:23], v38 offset0:72 offset1:76
	v_fma_f64 v[2:3], v[28:29], v[4:5], v[2:3]
	s_waitcnt lgkmcnt(1)
	v_fma_f64 v[4:5], v[28:29], v[12:13], v[34:35]
	v_fma_f64 v[6:7], v[28:29], v[8:9], v[6:7]
	s_waitcnt lgkmcnt(0)
	v_fma_f64 v[8:9], v[28:29], v[20:21], v[16:17]
	v_fma_f64 v[12:13], v[28:29], v[32:33], v[24:25]
	ds_load_b64 v[16:17], v39 offset:2048
	ds_load_b64 v[20:21], v38 offset:768
	s_waitcnt lgkmcnt(1)
	v_fma_f64 v[2:3], v[16:17], v[10:11], v[2:3]
	v_fma_f64 v[4:5], v[16:17], v[14:15], v[4:5]
	;; [unrolled: 1-line block ×4, first 2 shown]
	s_waitcnt lgkmcnt(0)
	v_fma_f64 v[10:11], v[16:17], v[20:21], v[12:13]
	v_lshl_add_u32 v12, v1, 5, v38
	ds_store_2addr_b64 v12, v[2:3], v[4:5] offset0:126 offset1:142
	ds_store_2addr_b64 v12, v[6:7], v[8:9] offset0:158 offset1:174
	ds_store_b64 v12, v[10:11] offset:1520
.LBB1_24:
	s_or_b32 exec_lo, exec_lo, s1
	s_waitcnt vmcnt(0) lgkmcnt(0)
	s_waitcnt_vscnt null, 0x0
	; wave barrier
	s_waitcnt lgkmcnt(0)
	buffer_gl0_inv
	s_and_saveexec_b32 s0, vcc_lo
	s_cbranch_execz .LBB1_27
; %bb.25:
	v_cmp_gt_u32_e32 vcc_lo, 4, v0
	s_and_b32 exec_lo, exec_lo, vcc_lo
	s_cbranch_execz .LBB1_27
; %bb.26:
	v_dual_mov_b32 v48, 0 :: v_dual_lshlrev_b32 v1, 5, v1
	s_lshl_b64 s[0:1], s[2:3], 9
	v_lshlrev_b32_e32 v0, 3, v0
	s_add_u32 s0, s0, s14
	s_addc_u32 s1, s1, s15
	v_add_co_u32 v2, s0, s0, v1
	s_delay_alu instid0(VALU_DEP_1) | instskip(SKIP_1) | instid1(VALU_DEP_3)
	v_add_co_ci_u32_e64 v3, null, s1, 0, s0
	v_add_nc_u32_e32 v49, v1, v0
	v_add_co_u32 v32, vcc_lo, v2, v0
	s_delay_alu instid0(VALU_DEP_3)
	v_add_co_ci_u32_e32 v33, vcc_lo, 0, v3, vcc_lo
	s_clause 0x3
	global_load_b64 v[34:35], v[32:33], off
	global_load_b64 v[36:37], v[32:33], off offset:128
	global_load_b64 v[38:39], v[32:33], off offset:256
	;; [unrolled: 1-line block ×3, first 2 shown]
	ds_load_b128 v[0:3], v48 offset:2016
	ds_load_2addr_b64 v[4:7], v49 offset0:126 offset1:142
	ds_load_b128 v[8:11], v48 offset:2048
	ds_load_b128 v[12:15], v48 offset:2096
	;; [unrolled: 1-line block ×5, first 2 shown]
	ds_load_b64 v[42:43], v49 offset:1520
	s_waitcnt lgkmcnt(6)
	v_fma_f64 v[0:1], v[4:5], v[0:1], 0
	s_waitcnt lgkmcnt(5)
	v_fma_f64 v[44:45], v[4:5], v[10:11], 0
	;; [unrolled: 2-line block ×4, first 2 shown]
	ds_load_b128 v[10:13], v48 offset:2064
	ds_load_b128 v[28:31], v48 offset:2080
	v_fma_f64 v[18:19], v[6:7], v[2:3], v[0:1]
	s_waitcnt lgkmcnt(1)
	v_fma_f64 v[10:11], v[6:7], v[10:11], v[44:45]
	v_fma_f64 v[14:15], v[6:7], v[14:15], v[46:47]
	v_fma_f64 v[20:21], v[6:7], v[20:21], v[4:5]
	ds_load_b128 v[0:3], v48 offset:2032
	ds_load_2addr_b64 v[4:7], v49 offset0:158 offset1:174
	s_waitcnt lgkmcnt(0)
	v_fma_f64 v[0:1], v[4:5], v[0:1], v[18:19]
	v_fma_f64 v[18:19], v[4:5], v[12:13], v[10:11]
	;; [unrolled: 1-line block ×4, first 2 shown]
	ds_load_b128 v[10:13], v48 offset:2160
	v_fma_f64 v[0:1], v[6:7], v[2:3], v[0:1]
	v_fma_f64 v[2:3], v[6:7], v[28:29], v[18:19]
	;; [unrolled: 1-line block ×3, first 2 shown]
	s_waitcnt lgkmcnt(0)
	v_fma_f64 v[4:5], v[6:7], v[10:11], v[4:5]
	s_delay_alu instid0(VALU_DEP_4) | instskip(NEXT) | instid1(VALU_DEP_4)
	v_fma_f64 v[0:1], v[42:43], v[8:9], v[0:1]
	v_fma_f64 v[2:3], v[42:43], v[30:31], v[2:3]
	s_delay_alu instid0(VALU_DEP_4) | instskip(NEXT) | instid1(VALU_DEP_4)
	v_fma_f64 v[6:7], v[42:43], v[16:17], v[14:15]
	v_fma_f64 v[4:5], v[42:43], v[12:13], v[4:5]
	s_waitcnt vmcnt(3)
	s_delay_alu instid0(VALU_DEP_4) | instskip(SKIP_1) | instid1(VALU_DEP_4)
	v_add_f64 v[0:1], v[0:1], v[34:35]
	s_waitcnt vmcnt(2)
	v_add_f64 v[2:3], v[2:3], v[36:37]
	s_waitcnt vmcnt(1)
	s_delay_alu instid0(VALU_DEP_4) | instskip(SKIP_1) | instid1(VALU_DEP_4)
	v_add_f64 v[6:7], v[6:7], v[38:39]
	s_waitcnt vmcnt(0)
	v_add_f64 v[4:5], v[4:5], v[40:41]
	s_clause 0x3
	global_store_b64 v[32:33], v[0:1], off
	global_store_b64 v[32:33], v[2:3], off offset:128
	global_store_b64 v[32:33], v[6:7], off offset:256
	;; [unrolled: 1-line block ×3, first 2 shown]
.LBB1_27:
	s_nop 0
	s_sendmsg sendmsg(MSG_DEALLOC_VGPRS)
	s_endpgm
	.section	.rodata,"a",@progbits
	.p2align	6, 0x0
	.amdhsa_kernel _ZN4RAJA34launch_new_reduce_global_fcn_fixedIZN8rajaperf4apps8MASS3DPA17runHipVariantImplILm25EEEvNS1_9VariantIDEEUlNS_14LaunchContextTINS_3hip33LaunchContextIndicesAndDimsPolicyINS7_14IndicesAndDimsILb0ELb0ELb0ELb0EEEEEEEE_Li25ENS_4expt15ForallParamPackIJEEEEEvT_T1_
		.amdhsa_group_segment_fixed_size 2176
		.amdhsa_private_segment_fixed_size 0
		.amdhsa_kernarg_size 52
		.amdhsa_user_sgpr_count 15
		.amdhsa_user_sgpr_dispatch_ptr 0
		.amdhsa_user_sgpr_queue_ptr 0
		.amdhsa_user_sgpr_kernarg_segment_ptr 1
		.amdhsa_user_sgpr_dispatch_id 0
		.amdhsa_user_sgpr_private_segment_size 0
		.amdhsa_wavefront_size32 1
		.amdhsa_uses_dynamic_stack 0
		.amdhsa_enable_private_segment 0
		.amdhsa_system_sgpr_workgroup_id_x 1
		.amdhsa_system_sgpr_workgroup_id_y 0
		.amdhsa_system_sgpr_workgroup_id_z 0
		.amdhsa_system_sgpr_workgroup_info 0
		.amdhsa_system_vgpr_workitem_id 1
		.amdhsa_next_free_vgpr 57
		.amdhsa_next_free_sgpr 18
		.amdhsa_reserve_vcc 1
		.amdhsa_float_round_mode_32 0
		.amdhsa_float_round_mode_16_64 0
		.amdhsa_float_denorm_mode_32 3
		.amdhsa_float_denorm_mode_16_64 3
		.amdhsa_dx10_clamp 1
		.amdhsa_ieee_mode 1
		.amdhsa_fp16_overflow 0
		.amdhsa_workgroup_processor_mode 1
		.amdhsa_memory_ordered 1
		.amdhsa_forward_progress 0
		.amdhsa_shared_vgpr_count 0
		.amdhsa_exception_fp_ieee_invalid_op 0
		.amdhsa_exception_fp_denorm_src 0
		.amdhsa_exception_fp_ieee_div_zero 0
		.amdhsa_exception_fp_ieee_overflow 0
		.amdhsa_exception_fp_ieee_underflow 0
		.amdhsa_exception_fp_ieee_inexact 0
		.amdhsa_exception_int_div_zero 0
	.end_amdhsa_kernel
	.section	.text._ZN4RAJA34launch_new_reduce_global_fcn_fixedIZN8rajaperf4apps8MASS3DPA17runHipVariantImplILm25EEEvNS1_9VariantIDEEUlNS_14LaunchContextTINS_3hip33LaunchContextIndicesAndDimsPolicyINS7_14IndicesAndDimsILb0ELb0ELb0ELb0EEEEEEEE_Li25ENS_4expt15ForallParamPackIJEEEEEvT_T1_,"axG",@progbits,_ZN4RAJA34launch_new_reduce_global_fcn_fixedIZN8rajaperf4apps8MASS3DPA17runHipVariantImplILm25EEEvNS1_9VariantIDEEUlNS_14LaunchContextTINS_3hip33LaunchContextIndicesAndDimsPolicyINS7_14IndicesAndDimsILb0ELb0ELb0ELb0EEEEEEEE_Li25ENS_4expt15ForallParamPackIJEEEEEvT_T1_,comdat
.Lfunc_end1:
	.size	_ZN4RAJA34launch_new_reduce_global_fcn_fixedIZN8rajaperf4apps8MASS3DPA17runHipVariantImplILm25EEEvNS1_9VariantIDEEUlNS_14LaunchContextTINS_3hip33LaunchContextIndicesAndDimsPolicyINS7_14IndicesAndDimsILb0ELb0ELb0ELb0EEEEEEEE_Li25ENS_4expt15ForallParamPackIJEEEEEvT_T1_, .Lfunc_end1-_ZN4RAJA34launch_new_reduce_global_fcn_fixedIZN8rajaperf4apps8MASS3DPA17runHipVariantImplILm25EEEvNS1_9VariantIDEEUlNS_14LaunchContextTINS_3hip33LaunchContextIndicesAndDimsPolicyINS7_14IndicesAndDimsILb0ELb0ELb0ELb0EEEEEEEE_Li25ENS_4expt15ForallParamPackIJEEEEEvT_T1_
                                        ; -- End function
	.section	.AMDGPU.csdata,"",@progbits
; Kernel info:
; codeLenInByte = 3136
; NumSgprs: 20
; NumVgprs: 57
; ScratchSize: 0
; MemoryBound: 0
; FloatMode: 240
; IeeeMode: 1
; LDSByteSize: 2176 bytes/workgroup (compile time only)
; SGPRBlocks: 2
; VGPRBlocks: 7
; NumSGPRsForWavesPerEU: 20
; NumVGPRsForWavesPerEU: 57
; Occupancy: 15
; WaveLimiterHint : 1
; COMPUTE_PGM_RSRC2:SCRATCH_EN: 0
; COMPUTE_PGM_RSRC2:USER_SGPR: 15
; COMPUTE_PGM_RSRC2:TRAP_HANDLER: 0
; COMPUTE_PGM_RSRC2:TGID_X_EN: 1
; COMPUTE_PGM_RSRC2:TGID_Y_EN: 0
; COMPUTE_PGM_RSRC2:TGID_Z_EN: 0
; COMPUTE_PGM_RSRC2:TIDIG_COMP_CNT: 1
	.text
	.p2alignl 7, 3214868480
	.fill 96, 4, 3214868480
	.type	__hip_cuid_1a4fe9e2e48830cb,@object ; @__hip_cuid_1a4fe9e2e48830cb
	.section	.bss,"aw",@nobits
	.globl	__hip_cuid_1a4fe9e2e48830cb
__hip_cuid_1a4fe9e2e48830cb:
	.byte	0                               ; 0x0
	.size	__hip_cuid_1a4fe9e2e48830cb, 1

	.ident	"AMD clang version 19.0.0git (https://github.com/RadeonOpenCompute/llvm-project roc-6.4.0 25133 c7fe45cf4b819c5991fe208aaa96edf142730f1d)"
	.section	".note.GNU-stack","",@progbits
	.addrsig
	.addrsig_sym __hip_cuid_1a4fe9e2e48830cb
	.amdgpu_metadata
---
amdhsa.kernels:
  - .args:
      - .address_space:  global
        .offset:         0
        .size:           8
        .value_kind:     global_buffer
      - .address_space:  global
        .offset:         8
        .size:           8
        .value_kind:     global_buffer
      - .address_space:  global
        .offset:         16
        .size:           8
        .value_kind:     global_buffer
      - .address_space:  global
        .offset:         24
        .size:           8
        .value_kind:     global_buffer
      - .address_space:  global
        .offset:         32
        .size:           8
        .value_kind:     global_buffer
    .group_segment_fixed_size: 2176
    .kernarg_segment_align: 8
    .kernarg_segment_size: 40
    .language:       OpenCL C
    .language_version:
      - 2
      - 0
    .max_flat_workgroup_size: 25
    .name:           _ZN8rajaperf4apps8Mass3DPAILm25EEEvPdS2_S2_S2_S2_
    .private_segment_fixed_size: 0
    .sgpr_count:     20
    .sgpr_spill_count: 0
    .symbol:         _ZN8rajaperf4apps8Mass3DPAILm25EEEvPdS2_S2_S2_S2_.kd
    .uniform_work_group_size: 1
    .uses_dynamic_stack: false
    .vgpr_count:     57
    .vgpr_spill_count: 0
    .wavefront_size: 32
    .workgroup_processor_mode: 1
  - .args:
      - .offset:         0
        .size:           48
        .value_kind:     by_value
      - .offset:         48
        .size:           1
        .value_kind:     by_value
    .group_segment_fixed_size: 2176
    .kernarg_segment_align: 8
    .kernarg_segment_size: 52
    .language:       OpenCL C
    .language_version:
      - 2
      - 0
    .max_flat_workgroup_size: 25
    .name:           _ZN4RAJA34launch_new_reduce_global_fcn_fixedIZN8rajaperf4apps8MASS3DPA17runHipVariantImplILm25EEEvNS1_9VariantIDEEUlNS_14LaunchContextTINS_3hip33LaunchContextIndicesAndDimsPolicyINS7_14IndicesAndDimsILb0ELb0ELb0ELb0EEEEEEEE_Li25ENS_4expt15ForallParamPackIJEEEEEvT_T1_
    .private_segment_fixed_size: 0
    .sgpr_count:     20
    .sgpr_spill_count: 0
    .symbol:         _ZN4RAJA34launch_new_reduce_global_fcn_fixedIZN8rajaperf4apps8MASS3DPA17runHipVariantImplILm25EEEvNS1_9VariantIDEEUlNS_14LaunchContextTINS_3hip33LaunchContextIndicesAndDimsPolicyINS7_14IndicesAndDimsILb0ELb0ELb0ELb0EEEEEEEE_Li25ENS_4expt15ForallParamPackIJEEEEEvT_T1_.kd
    .uniform_work_group_size: 1
    .uses_dynamic_stack: false
    .vgpr_count:     57
    .vgpr_spill_count: 0
    .wavefront_size: 32
    .workgroup_processor_mode: 1
amdhsa.target:   amdgcn-amd-amdhsa--gfx1100
amdhsa.version:
  - 1
  - 2
...

	.end_amdgpu_metadata
